;; amdgpu-corpus repo=ROCm/rocFFT kind=compiled arch=gfx1030 opt=O3
	.text
	.amdgcn_target "amdgcn-amd-amdhsa--gfx1030"
	.amdhsa_code_object_version 6
	.protected	fft_rtc_back_len280_factors_8_5_7_wgs_392_tpt_56_half_op_CI_CI_sbcc_twdbase8_3step_dirReg ; -- Begin function fft_rtc_back_len280_factors_8_5_7_wgs_392_tpt_56_half_op_CI_CI_sbcc_twdbase8_3step_dirReg
	.globl	fft_rtc_back_len280_factors_8_5_7_wgs_392_tpt_56_half_op_CI_CI_sbcc_twdbase8_3step_dirReg
	.p2align	8
	.type	fft_rtc_back_len280_factors_8_5_7_wgs_392_tpt_56_half_op_CI_CI_sbcc_twdbase8_3step_dirReg,@function
fft_rtc_back_len280_factors_8_5_7_wgs_392_tpt_56_half_op_CI_CI_sbcc_twdbase8_3step_dirReg: ; @fft_rtc_back_len280_factors_8_5_7_wgs_392_tpt_56_half_op_CI_CI_sbcc_twdbase8_3step_dirReg
; %bb.0:
	s_clause 0x1
	s_load_dwordx4 s[0:3], s[4:5], 0x18
	s_load_dwordx2 s[30:31], s[4:5], 0x28
	s_mov_b64 s[24:25], 0
	s_waitcnt lgkmcnt(0)
	s_load_dwordx2 s[28:29], s[0:1], 0x8
	s_waitcnt lgkmcnt(0)
	s_add_u32 s7, s28, -1
	s_addc_u32 s8, s29, -1
	s_add_u32 s9, 0, 0x92481000
	s_addc_u32 s10, 0, 0x64
	s_mul_hi_u32 s12, s9, -7
	s_add_i32 s10, s10, 0x249248c0
	s_sub_i32 s12, s12, s9
	s_mul_i32 s14, s10, -7
	s_mul_i32 s11, s9, -7
	s_add_i32 s12, s12, s14
	s_mul_hi_u32 s13, s9, s11
	s_mul_i32 s16, s9, s12
	s_mul_hi_u32 s14, s9, s12
	s_mul_hi_u32 s15, s10, s11
	s_mul_i32 s11, s10, s11
	s_add_u32 s13, s13, s16
	s_addc_u32 s14, 0, s14
	s_mul_hi_u32 s17, s10, s12
	s_add_u32 s11, s13, s11
	s_mul_i32 s12, s10, s12
	s_addc_u32 s11, s14, s15
	s_addc_u32 s13, s17, 0
	s_add_u32 s11, s11, s12
	v_add_co_u32 v1, s9, s9, s11
	s_addc_u32 s11, 0, s13
	s_cmp_lg_u32 s9, 0
	s_addc_u32 s9, s10, s11
	v_readfirstlane_b32 s10, v1
	s_mul_i32 s12, s7, s9
	s_mul_hi_u32 s11, s7, s9
	s_mul_hi_u32 s13, s8, s9
	s_mul_i32 s9, s8, s9
	s_mul_hi_u32 s14, s7, s10
	s_mul_hi_u32 s15, s8, s10
	s_mul_i32 s10, s8, s10
	s_add_u32 s12, s14, s12
	s_addc_u32 s11, 0, s11
	s_add_u32 s10, s12, s10
	s_addc_u32 s10, s11, s15
	s_addc_u32 s11, s13, 0
	s_add_u32 s9, s10, s9
	s_addc_u32 s10, 0, s11
	s_mul_i32 s12, s9, 7
	s_add_u32 s11, s9, 1
	v_sub_co_u32 v1, s7, s7, s12
	s_mul_hi_u32 s12, s9, 7
	s_addc_u32 s13, s10, 0
	s_mul_i32 s14, s10, 7
	v_sub_co_u32 v2, s15, v1, 7
	s_add_u32 s16, s9, 2
	s_addc_u32 s17, s10, 0
	s_add_i32 s12, s12, s14
	s_cmp_lg_u32 s7, 0
	v_readfirstlane_b32 s7, v2
	s_subb_u32 s8, s8, s12
	s_cmp_lg_u32 s15, 0
	s_subb_u32 s12, s8, 0
	s_cmp_gt_u32 s7, 6
	s_cselect_b32 s7, -1, 0
	s_cmp_eq_u32 s12, 0
	v_readfirstlane_b32 s12, v1
	s_cselect_b32 s7, s7, -1
	s_cmp_lg_u32 s7, 0
	s_cselect_b32 s11, s16, s11
	s_cselect_b32 s13, s17, s13
	s_cmp_gt_u32 s12, 6
	s_cselect_b32 s7, -1, 0
	s_cmp_eq_u32 s8, 0
	s_cselect_b32 s7, s7, -1
	s_cmp_lg_u32 s7, 0
	s_mov_b32 s7, 0
	s_cselect_b32 s8, s11, s9
	s_cselect_b32 s9, s13, s10
	s_add_u32 s34, s8, 1
	s_addc_u32 s35, s9, 0
	v_cmp_lt_u64_e64 s8, s[6:7], s[34:35]
	s_and_b32 vcc_lo, exec_lo, s8
	s_cbranch_vccnz .LBB0_2
; %bb.1:
	v_cvt_f32_u32_e32 v1, s34
	s_sub_i32 s9, 0, s34
	s_mov_b32 s25, s7
	v_rcp_iflag_f32_e32 v1, v1
	v_mul_f32_e32 v1, 0x4f7ffffe, v1
	v_cvt_u32_f32_e32 v1, v1
	v_readfirstlane_b32 s8, v1
	s_mul_i32 s9, s9, s8
	s_mul_hi_u32 s9, s8, s9
	s_add_i32 s8, s8, s9
	s_mul_hi_u32 s8, s6, s8
	s_mul_i32 s9, s8, s34
	s_add_i32 s10, s8, 1
	s_sub_i32 s9, s6, s9
	s_sub_i32 s11, s9, s34
	s_cmp_ge_u32 s9, s34
	s_cselect_b32 s8, s10, s8
	s_cselect_b32 s9, s11, s9
	s_add_i32 s10, s8, 1
	s_cmp_ge_u32 s9, s34
	s_cselect_b32 s24, s10, s8
.LBB0_2:
	s_load_dwordx4 s[20:23], s[2:3], 0x0
	s_load_dwordx4 s[8:11], s[30:31], 0x0
	s_clause 0x1
	s_load_dwordx4 s[16:19], s[4:5], 0x8
	s_load_dwordx2 s[26:27], s[4:5], 0x0
	s_mul_i32 s12, s24, s35
	s_mul_hi_u32 s13, s24, s34
	s_mul_i32 s14, s24, s34
	s_add_i32 s13, s13, s12
	s_sub_u32 s48, s6, s14
	s_subb_u32 s12, 0, s13
	s_mul_hi_u32 s47, s48, 7
	s_mul_i32 s33, s12, 7
	s_load_dwordx4 s[12:15], s[4:5], 0x60
	s_add_i32 s47, s47, s33
	s_mul_i32 s48, s48, 7
	s_waitcnt lgkmcnt(0)
	s_mul_i32 s4, s22, s47
	s_mul_hi_u32 s5, s22, s48
	v_cmp_lt_u64_e64 s39, s[18:19], 3
	s_mul_i32 s36, s10, s47
	s_mul_hi_u32 s37, s10, s48
	s_mul_i32 s33, s23, s48
	s_mul_i32 s38, s11, s48
	s_add_i32 s4, s5, s4
	s_add_i32 s5, s37, s36
	;; [unrolled: 1-line block ×3, first 2 shown]
	s_mul_i32 s50, s22, s48
	s_add_i32 s33, s5, s38
	s_and_b32 vcc_lo, exec_lo, s39
	s_mul_i32 s46, s10, s48
	s_cbranch_vccnz .LBB0_12
; %bb.3:
	s_add_u32 s4, s30, 16
	s_addc_u32 s5, s31, 0
	s_add_u32 s36, s2, 16
	s_addc_u32 s37, s3, 0
	;; [unrolled: 2-line block ×3, first 2 shown]
	s_mov_b64 s[38:39], 2
	s_mov_b32 s40, 0
.LBB0_4:                                ; =>This Inner Loop Header: Depth=1
	s_load_dwordx2 s[42:43], s[0:1], 0x0
	s_waitcnt lgkmcnt(0)
	s_or_b64 s[44:45], s[24:25], s[42:43]
	s_mov_b32 s41, s45
                                        ; implicit-def: $sgpr44_sgpr45
	s_cmp_lg_u64 s[40:41], 0
	s_mov_b32 s41, -1
	s_cbranch_scc0 .LBB0_6
; %bb.5:                                ;   in Loop: Header=BB0_4 Depth=1
	v_cvt_f32_u32_e32 v1, s42
	v_cvt_f32_u32_e32 v2, s43
	s_sub_u32 s45, 0, s42
	s_subb_u32 s51, 0, s43
	v_fmac_f32_e32 v1, 0x4f800000, v2
	v_rcp_f32_e32 v1, v1
	v_mul_f32_e32 v1, 0x5f7ffffc, v1
	v_mul_f32_e32 v2, 0x2f800000, v1
	v_trunc_f32_e32 v2, v2
	v_fmac_f32_e32 v1, 0xcf800000, v2
	v_cvt_u32_f32_e32 v2, v2
	v_cvt_u32_f32_e32 v1, v1
	v_readfirstlane_b32 s41, v2
	v_readfirstlane_b32 s44, v1
	s_mul_i32 s52, s45, s41
	s_mul_hi_u32 s54, s45, s44
	s_mul_i32 s53, s51, s44
	s_add_i32 s52, s54, s52
	s_mul_i32 s55, s45, s44
	s_add_i32 s52, s52, s53
	s_mul_hi_u32 s54, s44, s55
	s_mul_hi_u32 s56, s41, s55
	s_mul_i32 s53, s41, s55
	s_mul_hi_u32 s55, s44, s52
	s_mul_i32 s44, s44, s52
	s_mul_hi_u32 s57, s41, s52
	s_add_u32 s44, s54, s44
	s_addc_u32 s54, 0, s55
	s_add_u32 s44, s44, s53
	s_mul_i32 s52, s41, s52
	s_addc_u32 s44, s54, s56
	s_addc_u32 s53, s57, 0
	s_add_u32 s44, s44, s52
	s_addc_u32 s52, 0, s53
	v_add_co_u32 v1, s44, v1, s44
	s_cmp_lg_u32 s44, 0
	s_addc_u32 s41, s41, s52
	v_readfirstlane_b32 s44, v1
	s_mul_i32 s52, s45, s41
	s_mul_hi_u32 s53, s45, s44
	s_mul_i32 s51, s51, s44
	s_add_i32 s52, s53, s52
	s_mul_i32 s45, s45, s44
	s_add_i32 s52, s52, s51
	s_mul_hi_u32 s53, s41, s45
	s_mul_i32 s54, s41, s45
	s_mul_hi_u32 s45, s44, s45
	s_mul_hi_u32 s55, s44, s52
	s_mul_i32 s44, s44, s52
	s_mul_hi_u32 s51, s41, s52
	s_add_u32 s44, s45, s44
	s_addc_u32 s45, 0, s55
	s_add_u32 s44, s44, s54
	s_mul_i32 s52, s41, s52
	s_addc_u32 s44, s45, s53
	s_addc_u32 s45, s51, 0
	s_add_u32 s44, s44, s52
	s_addc_u32 s45, 0, s45
	v_add_co_u32 v1, s44, v1, s44
	s_cmp_lg_u32 s44, 0
	s_addc_u32 s41, s41, s45
	v_readfirstlane_b32 s44, v1
	s_mul_i32 s51, s24, s41
	s_mul_hi_u32 s45, s24, s41
	s_mul_hi_u32 s52, s25, s41
	s_mul_i32 s41, s25, s41
	s_mul_hi_u32 s53, s24, s44
	s_mul_hi_u32 s54, s25, s44
	s_mul_i32 s44, s25, s44
	s_add_u32 s51, s53, s51
	s_addc_u32 s45, 0, s45
	s_add_u32 s44, s51, s44
	s_addc_u32 s44, s45, s54
	s_addc_u32 s45, s52, 0
	s_add_u32 s44, s44, s41
	s_addc_u32 s45, 0, s45
	s_mul_hi_u32 s41, s42, s44
	s_mul_i32 s52, s42, s45
	s_mul_i32 s53, s42, s44
	s_add_i32 s41, s41, s52
	v_sub_co_u32 v1, s52, s24, s53
	s_mul_i32 s51, s43, s44
	s_add_i32 s41, s41, s51
	v_sub_co_u32 v2, s53, v1, s42
	s_sub_i32 s51, s25, s41
	s_cmp_lg_u32 s52, 0
	s_subb_u32 s51, s51, s43
	s_cmp_lg_u32 s53, 0
	v_readfirstlane_b32 s53, v2
	s_subb_u32 s51, s51, 0
	s_cmp_ge_u32 s51, s43
	s_cselect_b32 s54, -1, 0
	s_cmp_ge_u32 s53, s42
	s_cselect_b32 s53, -1, 0
	s_cmp_eq_u32 s51, s43
	s_cselect_b32 s51, s53, s54
	s_add_u32 s53, s44, 1
	s_addc_u32 s54, s45, 0
	s_add_u32 s55, s44, 2
	s_addc_u32 s56, s45, 0
	s_cmp_lg_u32 s51, 0
	s_cselect_b32 s51, s55, s53
	s_cselect_b32 s53, s56, s54
	s_cmp_lg_u32 s52, 0
	v_readfirstlane_b32 s52, v1
	s_subb_u32 s41, s25, s41
	s_cmp_ge_u32 s41, s43
	s_cselect_b32 s54, -1, 0
	s_cmp_ge_u32 s52, s42
	s_cselect_b32 s52, -1, 0
	s_cmp_eq_u32 s41, s43
	s_cselect_b32 s41, s52, s54
	s_cmp_lg_u32 s41, 0
	s_mov_b32 s41, 0
	s_cselect_b32 s45, s53, s45
	s_cselect_b32 s44, s51, s44
.LBB0_6:                                ;   in Loop: Header=BB0_4 Depth=1
	s_andn2_b32 vcc_lo, exec_lo, s41
	s_cbranch_vccnz .LBB0_8
; %bb.7:                                ;   in Loop: Header=BB0_4 Depth=1
	v_cvt_f32_u32_e32 v1, s42
	s_sub_i32 s44, 0, s42
	v_rcp_iflag_f32_e32 v1, v1
	v_mul_f32_e32 v1, 0x4f7ffffe, v1
	v_cvt_u32_f32_e32 v1, v1
	v_readfirstlane_b32 s41, v1
	s_mul_i32 s44, s44, s41
	s_mul_hi_u32 s44, s41, s44
	s_add_i32 s41, s41, s44
	s_mul_hi_u32 s41, s24, s41
	s_mul_i32 s44, s41, s42
	s_add_i32 s45, s41, 1
	s_sub_i32 s44, s24, s44
	s_sub_i32 s51, s44, s42
	s_cmp_ge_u32 s44, s42
	s_cselect_b32 s41, s45, s41
	s_cselect_b32 s44, s51, s44
	s_add_i32 s45, s41, 1
	s_cmp_ge_u32 s44, s42
	s_cselect_b32 s44, s45, s41
	s_mov_b32 s45, s40
.LBB0_8:                                ;   in Loop: Header=BB0_4 Depth=1
	s_load_dwordx2 s[52:53], s[36:37], 0x0
	s_load_dwordx2 s[54:55], s[4:5], 0x0
	s_mul_i32 s35, s42, s35
	s_mul_hi_u32 s41, s42, s34
	s_mul_i32 s51, s43, s34
	s_mul_i32 s43, s44, s43
	s_mul_hi_u32 s56, s44, s42
	s_mul_i32 s57, s45, s42
	s_add_i32 s35, s41, s35
	s_add_i32 s41, s56, s43
	s_mul_i32 s58, s44, s42
	s_add_i32 s35, s35, s51
	s_add_i32 s41, s41, s57
	s_sub_u32 s24, s24, s58
	s_subb_u32 s25, s25, s41
	s_mul_i32 s34, s42, s34
	s_waitcnt lgkmcnt(0)
	s_mul_i32 s41, s52, s25
	s_mul_hi_u32 s43, s52, s24
	s_mul_i32 s51, s53, s24
	s_add_i32 s41, s43, s41
	s_mul_i32 s52, s52, s24
	s_mul_i32 s25, s54, s25
	s_mul_hi_u32 s43, s54, s24
	s_add_i32 s41, s41, s51
	s_add_u32 s50, s52, s50
	s_addc_u32 s49, s41, s49
	s_add_i32 s25, s43, s25
	s_mul_i32 s41, s55, s24
	s_mul_i32 s24, s54, s24
	s_add_i32 s25, s25, s41
	s_add_u32 s46, s24, s46
	s_addc_u32 s33, s25, s33
	s_add_u32 s38, s38, 1
	s_addc_u32 s39, s39, 0
	s_add_u32 s4, s4, 8
	v_cmp_ge_u64_e64 s24, s[38:39], s[18:19]
	s_addc_u32 s5, s5, 0
	s_add_u32 s36, s36, 8
	s_addc_u32 s37, s37, 0
	s_add_u32 s0, s0, 8
	s_addc_u32 s1, s1, 0
	s_and_b32 vcc_lo, exec_lo, s24
	s_cbranch_vccnz .LBB0_10
; %bb.9:                                ;   in Loop: Header=BB0_4 Depth=1
	s_mov_b64 s[24:25], s[44:45]
	s_branch .LBB0_4
.LBB0_10:
	v_cmp_lt_u64_e64 s0, s[6:7], s[34:35]
	s_mov_b64 s[24:25], 0
	s_and_b32 vcc_lo, exec_lo, s0
	s_cbranch_vccnz .LBB0_12
; %bb.11:
	v_cvt_f32_u32_e32 v1, s34
	s_sub_i32 s1, 0, s34
	v_rcp_iflag_f32_e32 v1, v1
	v_mul_f32_e32 v1, 0x4f7ffffe, v1
	v_cvt_u32_f32_e32 v1, v1
	v_readfirstlane_b32 s0, v1
	s_mul_i32 s1, s1, s0
	s_mul_hi_u32 s1, s0, s1
	s_add_i32 s0, s0, s1
	s_mul_hi_u32 s0, s6, s0
	s_mul_i32 s1, s0, s34
	s_add_i32 s4, s0, 1
	s_sub_i32 s1, s6, s1
	s_sub_i32 s5, s1, s34
	s_cmp_ge_u32 s1, s34
	s_cselect_b32 s0, s4, s0
	s_cselect_b32 s1, s5, s1
	s_add_i32 s4, s0, 1
	s_cmp_ge_u32 s1, s34
	s_cselect_b32 s24, s4, s0
.LBB0_12:
	s_lshl_b64 s[6:7], s[18:19], 3
	v_mul_u32_u24_e32 v1, 0x2493, v0
	s_add_u32 s0, s2, s6
	s_addc_u32 s1, s3, s7
                                        ; implicit-def: $vgpr13
                                        ; implicit-def: $vgpr17
                                        ; implicit-def: $vgpr15
                                        ; implicit-def: $vgpr19
                                        ; implicit-def: $vgpr14
                                        ; implicit-def: $vgpr18
                                        ; implicit-def: $vgpr16
                                        ; implicit-def: $vgpr20
	s_load_dwordx2 s[2:3], s[0:1], 0x0
	v_lshrrev_b32_e32 v3, 16, v1
	v_cmp_gt_u32_e64 s0, 0xf5, v0
	v_mul_lo_u16 v1, v3, 7
	v_add_nc_u32_e32 v11, 35, v3
	v_add_nc_u32_e32 v12, 0x46, v3
	;; [unrolled: 1-line block ×4, first 2 shown]
	v_sub_nc_u16 v7, v0, v1
	v_add_nc_u32_e32 v8, 0xaf, v3
	v_add_nc_u32_e32 v6, 0xd2, v3
	;; [unrolled: 1-line block ×3, first 2 shown]
	v_and_b32_e32 v4, 0xffff, v7
	s_waitcnt lgkmcnt(0)
	s_mul_i32 s1, s3, s24
	s_mul_hi_u32 s3, s2, s24
	s_mul_i32 s2, s2, s24
	s_add_i32 s3, s3, s1
	s_add_u32 s4, s2, s50
	s_addc_u32 s5, s3, s49
	s_add_u32 s2, s30, s6
	s_addc_u32 s3, s31, s7
	;; [unrolled: 2-line block ×3, first 2 shown]
	v_cmp_le_u64_e64 s6, s[6:7], s[28:29]
	s_and_b32 s7, s0, s6
	s_and_saveexec_b32 s1, s7
	s_cbranch_execz .LBB0_14
; %bb.13:
	v_mad_u64_u32 v[1:2], null, s22, v4, 0
	v_mad_u64_u32 v[13:14], null, s20, v3, 0
	v_mad_u64_u32 v[15:16], null, s20, v11, 0
	s_lshl_b64 s[18:19], s[4:5], 2
	s_add_u32 s7, s12, s18
	v_mad_u64_u32 v[17:18], null, s23, v4, v[2:3]
	v_mad_u64_u32 v[18:19], null, s20, v12, 0
	;; [unrolled: 1-line block ×3, first 2 shown]
	s_addc_u32 s18, s13, s19
	v_mad_u64_u32 v[21:22], null, s20, v10, 0
	v_mov_b32_e32 v2, v17
	v_mov_b32_e32 v17, v19
	;; [unrolled: 1-line block ×3, first 2 shown]
	v_lshlrev_b64 v[1:2], 2, v[1:2]
	v_mad_u64_u32 v[19:20], null, s21, v11, v[16:17]
	v_lshlrev_b64 v[13:14], 2, v[13:14]
	v_mad_u64_u32 v[23:24], null, s21, v12, v[17:18]
	v_add_co_u32 v32, vcc_lo, s7, v1
	v_add_co_ci_u32_e32 v33, vcc_lo, s18, v2, vcc_lo
	v_mov_b32_e32 v16, v19
	v_add_co_u32 v1, vcc_lo, v32, v13
	v_add_co_ci_u32_e32 v2, vcc_lo, v33, v14, vcc_lo
	v_lshlrev_b64 v[13:14], 2, v[15:16]
	v_mad_u64_u32 v[16:17], null, s20, v9, 0
	v_mov_b32_e32 v15, v22
	v_mov_b32_e32 v19, v23
	v_add_co_u32 v25, vcc_lo, v32, v13
	v_add_co_ci_u32_e32 v26, vcc_lo, v33, v14, vcc_lo
	v_mad_u64_u32 v[22:23], null, s21, v10, v[15:16]
	v_lshlrev_b64 v[14:15], 2, v[18:19]
	v_mov_b32_e32 v13, v17
	v_mad_u64_u32 v[23:24], null, s20, v8, 0
	v_mad_u64_u32 v[18:19], null, s21, v9, v[13:14]
	;; [unrolled: 1-line block ×3, first 2 shown]
	v_mov_b32_e32 v17, v24
	v_add_co_u32 v30, vcc_lo, v32, v14
	v_add_co_ci_u32_e32 v31, vcc_lo, v33, v15, vcc_lo
	v_lshlrev_b64 v[14:15], 2, v[21:22]
	v_mad_u64_u32 v[27:28], null, s21, v8, v[17:18]
	v_mov_b32_e32 v13, v20
	v_mad_u64_u32 v[28:29], null, s20, v5, 0
	v_mov_b32_e32 v17, v18
	v_mad_u64_u32 v[20:21], null, s21, v6, v[13:14]
	v_add_co_u32 v21, vcc_lo, v32, v14
	v_add_co_ci_u32_e32 v22, vcc_lo, v33, v15, vcc_lo
	v_lshlrev_b64 v[14:15], 2, v[16:17]
	v_mov_b32_e32 v13, v29
	v_mov_b32_e32 v24, v27
	v_mad_u64_u32 v[16:17], null, s21, v5, v[13:14]
	v_lshlrev_b64 v[17:18], 2, v[23:24]
	v_add_co_u32 v23, vcc_lo, v32, v14
	v_lshlrev_b64 v[13:14], 2, v[19:20]
	v_add_co_ci_u32_e32 v24, vcc_lo, v33, v15, vcc_lo
	v_mov_b32_e32 v29, v16
	v_add_co_u32 v19, vcc_lo, v32, v17
	v_add_co_ci_u32_e32 v20, vcc_lo, v33, v18, vcc_lo
	v_lshlrev_b64 v[15:16], 2, v[28:29]
	v_add_co_u32 v27, vcc_lo, v32, v13
	v_add_co_ci_u32_e32 v28, vcc_lo, v33, v14, vcc_lo
	v_add_co_u32 v32, vcc_lo, v32, v15
	v_add_co_ci_u32_e32 v33, vcc_lo, v33, v16, vcc_lo
	s_clause 0x7
	global_load_dword v13, v[1:2], off
	global_load_dword v14, v[25:26], off
	;; [unrolled: 1-line block ×8, first 2 shown]
.LBB0_14:
	s_or_b32 exec_lo, exec_lo, s1
	v_add_co_u32 v1, s1, s48, v4
	v_add_co_ci_u32_e64 v2, null, s47, 0, s1
	s_xor_b32 s7, s6, -1
	v_cmp_gt_u64_e32 vcc_lo, s[28:29], v[1:2]
	s_and_b32 s1, s0, vcc_lo
	s_and_b32 s1, s7, s1
	s_and_saveexec_b32 s18, s1
	s_cbranch_execz .LBB0_16
; %bb.15:
	s_waitcnt vmcnt(6)
	v_mad_u64_u32 v[13:14], null, s22, v4, 0
	s_waitcnt vmcnt(4)
	v_mad_u64_u32 v[15:16], null, s20, v3, 0
	;; [unrolled: 2-line block ×3, first 2 shown]
	s_lshl_b64 s[4:5], s[4:5], 2
	s_add_u32 s1, s12, s4
	v_mov_b32_e32 v2, v14
	v_mov_b32_e32 v14, v16
	s_addc_u32 s4, s13, s5
	s_waitcnt vmcnt(0)
	v_mad_u64_u32 v[19:20], null, s23, v4, v[2:3]
	v_mad_u64_u32 v[20:21], null, s20, v12, 0
	;; [unrolled: 1-line block ×3, first 2 shown]
	v_mov_b32_e32 v2, v18
	v_mad_u64_u32 v[23:24], null, s20, v10, 0
	v_mov_b32_e32 v14, v19
	v_mov_b32_e32 v18, v21
	;; [unrolled: 1-line block ×3, first 2 shown]
	v_mad_u64_u32 v[21:22], null, s21, v11, v[2:3]
	v_lshlrev_b64 v[13:14], 2, v[13:14]
	v_mad_u64_u32 v[11:12], null, s21, v12, v[18:19]
	v_lshlrev_b64 v[15:16], 2, v[15:16]
	v_mov_b32_e32 v2, v24
	v_add_co_u32 v28, s1, s1, v13
	v_add_co_ci_u32_e64 v29, s1, s4, v14, s1
	v_mov_b32_e32 v18, v21
	v_add_co_u32 v12, s1, v28, v15
	v_add_co_ci_u32_e64 v13, s1, v29, v16, s1
	v_lshlrev_b64 v[14:15], 2, v[17:18]
	v_mad_u64_u32 v[16:17], null, s20, v9, 0
	v_mov_b32_e32 v21, v11
	v_mad_u64_u32 v[10:11], null, s21, v10, v[2:3]
	v_mad_u64_u32 v[18:19], null, s20, v8, 0
	v_lshlrev_b64 v[20:21], 2, v[20:21]
	v_mov_b32_e32 v2, v17
	v_add_co_u32 v14, s1, v28, v14
	v_mov_b32_e32 v24, v10
	v_add_co_ci_u32_e64 v15, s1, v29, v15, s1
	v_mov_b32_e32 v10, v19
	v_mad_u64_u32 v[25:26], null, s21, v9, v[2:3]
	v_mad_u64_u32 v[26:27], null, s20, v6, 0
	;; [unrolled: 1-line block ×4, first 2 shown]
	v_lshlrev_b64 v[22:23], 2, v[23:24]
	v_mov_b32_e32 v17, v25
	v_mov_b32_e32 v2, v27
	v_add_co_u32 v20, s1, v28, v20
	v_mov_b32_e32 v19, v8
	v_add_co_ci_u32_e64 v21, s1, v29, v21, s1
	v_mad_u64_u32 v[24:25], null, s21, v6, v[2:3]
	v_mov_b32_e32 v2, v10
	v_lshlrev_b64 v[10:11], 2, v[16:17]
	v_add_co_u32 v22, s1, v28, v22
	v_add_co_ci_u32_e64 v23, s1, v29, v23, s1
	v_mad_u64_u32 v[5:6], null, s21, v5, v[2:3]
	v_mov_b32_e32 v27, v24
	v_lshlrev_b64 v[16:17], 2, v[18:19]
	v_add_co_u32 v18, s1, v28, v10
	v_add_co_ci_u32_e64 v19, s1, v29, v11, s1
	v_mov_b32_e32 v10, v5
	v_lshlrev_b64 v[24:25], 2, v[26:27]
	v_add_co_u32 v5, s1, v28, v16
	v_add_co_ci_u32_e64 v6, s1, v29, v17, s1
	v_lshlrev_b64 v[8:9], 2, v[9:10]
	v_add_co_u32 v10, s1, v28, v24
	v_add_co_ci_u32_e64 v11, s1, v29, v25, s1
	v_add_co_u32 v8, s1, v28, v8
	v_add_co_ci_u32_e64 v9, s1, v29, v9, s1
	s_clause 0x7
	global_load_dword v13, v[12:13], off
	global_load_dword v14, v[14:15], off
	;; [unrolled: 1-line block ×8, first 2 shown]
.LBB0_16:
	s_or_b32 exec_lo, exec_lo, s18
	s_waitcnt vmcnt(3)
	v_pk_add_f16 v2, v13, v17 neg_lo:[0,1] neg_hi:[0,1]
	s_waitcnt vmcnt(1)
	v_pk_add_f16 v5, v15, v19 neg_lo:[0,1] neg_hi:[0,1]
	v_pk_add_f16 v8, v14, v18 neg_lo:[0,1] neg_hi:[0,1]
	s_waitcnt vmcnt(0)
	v_pk_add_f16 v9, v16, v20 neg_lo:[0,1] neg_hi:[0,1]
	s_load_dwordx2 s[2:3], s[2:3], 0x0
	v_pk_fma_f16 v13, v13, 2.0, v2 op_sel_hi:[1,0,1] neg_lo:[0,0,1] neg_hi:[0,0,1]
	v_pk_add_f16 v6, v2, v5 op_sel:[0,1] op_sel_hi:[1,0]
	v_pk_add_f16 v17, v2, v5 op_sel:[0,1] op_sel_hi:[1,0] neg_lo:[0,1] neg_hi:[0,1]
	v_pk_add_f16 v10, v8, v9 op_sel:[0,1] op_sel_hi:[1,0]
	v_pk_add_f16 v11, v8, v9 op_sel:[0,1] op_sel_hi:[1,0] neg_lo:[0,1] neg_hi:[0,1]
	v_pk_fma_f16 v5, v15, 2.0, v5 op_sel_hi:[1,0,1] neg_lo:[0,0,1] neg_hi:[0,0,1]
	v_pk_fma_f16 v14, v14, 2.0, v8 op_sel_hi:[1,0,1] neg_lo:[0,0,1] neg_hi:[0,0,1]
	v_bfi_b32 v6, 0xffff, v6, v17
	v_bfi_b32 v12, 0xffff, v10, v11
	v_pk_fma_f16 v10, v16, 2.0, v9 op_sel_hi:[1,0,1] neg_lo:[0,0,1] neg_hi:[0,0,1]
	v_pk_fma_f16 v9, v2, 2.0, v6 op_sel_hi:[1,0,1] neg_lo:[0,0,1] neg_hi:[0,0,1]
	;; [unrolled: 1-line block ×3, first 2 shown]
	v_pk_add_f16 v8, v13, v5 neg_lo:[0,1] neg_hi:[0,1]
	v_pk_add_f16 v15, v14, v10 neg_lo:[0,1] neg_hi:[0,1]
	v_pk_mul_f16 v10, 0x39a8, v11 op_sel_hi:[0,1]
	v_pk_fma_f16 v11, 0x39a8, v11, v9 op_sel_hi:[0,1,1] neg_lo:[0,1,0] neg_hi:[0,1,0]
	v_pk_add_f16 v2, v8, v15 op_sel:[0,1] op_sel_hi:[1,0]
	v_pk_add_f16 v5, v11, v10 op_sel:[0,1] op_sel_hi:[1,0]
	v_pk_add_f16 v10, v11, v10 op_sel:[0,1] op_sel_hi:[1,0] neg_lo:[0,1] neg_hi:[0,1]
	v_pk_add_f16 v11, v8, v15 op_sel:[0,1] op_sel_hi:[1,0] neg_lo:[0,1] neg_hi:[0,1]
	s_and_saveexec_b32 s1, s0
	s_cbranch_execz .LBB0_18
; %bb.17:
	v_pk_fma_f16 v13, v13, 2.0, v8 op_sel_hi:[1,0,1] neg_lo:[0,0,1] neg_hi:[0,0,1]
	v_pk_fma_f16 v14, v14, 2.0, v15 op_sel_hi:[1,0,1] neg_lo:[0,0,1] neg_hi:[0,0,1]
	v_pk_mul_f16 v16, 0x39a8, v12 op_sel_hi:[0,1]
	v_pk_fma_f16 v12, 0x39a8, v12, v6 op_sel_hi:[0,1,1]
	v_mul_u32_u24_e32 v17, 56, v3
	v_lshrrev_b32_e32 v18, 16, v13
	v_pk_add_f16 v14, v13, v14 neg_lo:[0,1] neg_hi:[0,1]
	v_mov_b32_e32 v20, 2
	v_pk_add_f16 v21, v12, v16 op_sel:[0,1] op_sel_hi:[1,0]
	v_pk_add_f16 v12, v12, v16 op_sel:[0,1] op_sel_hi:[1,0] neg_lo:[0,1] neg_hi:[0,1]
	v_lshlrev_b32_e32 v17, 2, v17
	v_lshrrev_b32_e32 v19, 16, v14
	v_bfi_b32 v15, 0xffff, v2, v11
	v_bfi_b32 v16, 0xffff, v5, v10
	;; [unrolled: 1-line block ×3, first 2 shown]
	v_fma_f16 v13, v13, 2.0, -v14
	v_fma_f16 v18, v18, 2.0, -v19
	v_lshlrev_b32_sdwa v19, v20, v7 dst_sel:DWORD dst_unused:UNUSED_PAD src0_sel:DWORD src1_sel:WORD_0
	v_pk_fma_f16 v8, v8, 2.0, v15 op_sel_hi:[1,0,1] neg_lo:[0,0,1] neg_hi:[0,0,1]
	v_pk_fma_f16 v6, v6, 2.0, v12 op_sel_hi:[1,0,1] neg_lo:[0,0,1] neg_hi:[0,0,1]
	;; [unrolled: 1-line block ×3, first 2 shown]
	v_lshlrev_b32_e32 v18, 16, v18
	v_add3_u32 v17, 0, v17, v19
	v_or_b32_sdwa v13, v18, v13 dst_sel:DWORD dst_unused:UNUSED_PAD src0_sel:DWORD src1_sel:WORD_0
	ds_write2_b32 v17, v14, v16 offset0:28 offset1:35
	ds_write2_b32 v17, v8, v6 offset0:14 offset1:21
	ds_write2_b32 v17, v13, v9 offset1:7
	ds_write2_b32 v17, v15, v12 offset0:42 offset1:49
.LBB0_18:
	s_or_b32 exec_lo, exec_lo, s1
	v_and_b32_e32 v8, 7, v3
	s_waitcnt lgkmcnt(0)
	s_barrier
	buffer_gl0_inv
	v_mul_u32_u24_e32 v9, 28, v3
	v_lshlrev_b32_e32 v6, 4, v8
	v_cmp_gt_u32_e64 s0, 0x118, v0
	v_lshrrev_b32_e32 v10, 16, v10
	v_lshrrev_b32_e32 v11, 16, v11
	global_load_dwordx4 v[12:15], v6, s[26:27]
	v_mov_b32_e32 v6, 2
	v_lshlrev_b32_sdwa v7, v6, v7 dst_sel:DWORD dst_unused:UNUSED_PAD src0_sel:DWORD src1_sel:WORD_0
	v_add3_u32 v18, 0, v9, v7
	v_lshrrev_b32_e32 v9, 3, v3
	ds_read_b32 v16, v18 offset:1568
	ds_read_b32 v17, v18 offset:3136
	ds_read_b32 v19, v18 offset:4704
	ds_read_b32 v20, v18 offset:6272
	v_mul_u32_u24_e32 v9, 40, v9
	v_or_b32_e32 v21, v9, v8
	ds_read_b32 v8, v18
	ds_read_u16 v9, v18 offset:2
	s_waitcnt vmcnt(0) lgkmcnt(0)
	s_barrier
	buffer_gl0_inv
	v_mul_u32_u24_e32 v0, 28, v21
	v_add3_u32 v22, 0, v0, v7
	v_lshrrev_b32_e32 v0, 16, v17
	v_lshrrev_b32_e32 v21, 16, v16
	;; [unrolled: 1-line block ×4, first 2 shown]
	v_mul_f16_sdwa v24, v12, v21 dst_sel:DWORD dst_unused:UNUSED_PAD src0_sel:WORD_1 src1_sel:DWORD
	v_mul_f16_sdwa v26, v13, v0 dst_sel:DWORD dst_unused:UNUSED_PAD src0_sel:WORD_1 src1_sel:DWORD
	v_mul_f16_sdwa v27, v13, v17 dst_sel:DWORD dst_unused:UNUSED_PAD src0_sel:WORD_1 src1_sel:DWORD
	v_mul_f16_sdwa v28, v14, v7 dst_sel:DWORD dst_unused:UNUSED_PAD src0_sel:WORD_1 src1_sel:DWORD
	v_mul_f16_sdwa v29, v14, v19 dst_sel:DWORD dst_unused:UNUSED_PAD src0_sel:WORD_1 src1_sel:DWORD
	v_mul_f16_sdwa v30, v15, v23 dst_sel:DWORD dst_unused:UNUSED_PAD src0_sel:WORD_1 src1_sel:DWORD
	v_mul_f16_sdwa v25, v12, v16 dst_sel:DWORD dst_unused:UNUSED_PAD src0_sel:WORD_1 src1_sel:DWORD
	v_mul_f16_sdwa v31, v15, v20 dst_sel:DWORD dst_unused:UNUSED_PAD src0_sel:WORD_1 src1_sel:DWORD
	v_fmac_f16_e32 v24, v12, v16
	v_fmac_f16_e32 v26, v13, v17
	v_fma_f16 v0, v13, v0, -v27
	v_fmac_f16_e32 v28, v14, v19
	v_fma_f16 v7, v14, v7, -v29
	v_fmac_f16_e32 v30, v15, v20
	v_fma_f16 v12, v12, v21, -v25
	v_fma_f16 v19, v15, v23, -v31
	v_add_f16_e32 v13, v24, v8
	v_add_f16_e32 v14, v26, v28
	v_sub_f16_e32 v15, v24, v26
	v_sub_f16_e32 v16, v30, v28
	v_add_f16_e32 v29, v0, v7
	v_add_f16_e32 v17, v24, v30
	;; [unrolled: 1-line block ×3, first 2 shown]
	v_sub_f16_e32 v20, v12, v19
	v_sub_f16_e32 v23, v26, v24
	v_add_f16_e32 v27, v9, v12
	v_sub_f16_e32 v24, v24, v30
	v_sub_f16_e32 v31, v26, v28
	;; [unrolled: 1-line block ×4, first 2 shown]
	v_add_f16_e32 v13, v13, v26
	v_fma_f16 v12, -0.5, v14, v8
	v_add_f16_e32 v26, v15, v16
	v_fma_f16 v15, -0.5, v29, v9
	v_sub_f16_e32 v21, v0, v7
	v_fmac_f16_e32 v8, -0.5, v17
	v_fmac_f16_e32 v9, -0.5, v34
	v_sub_f16_e32 v25, v28, v30
	v_sub_f16_e32 v33, v19, v7
	v_add_f16_e32 v0, v27, v0
	v_fmamk_f16 v14, v20, 0xbb9c, v12
	v_fmamk_f16 v16, v24, 0x3b9c, v15
	v_sub_f16_e32 v36, v7, v19
	v_add_f16_e32 v28, v13, v28
	v_fmamk_f16 v13, v21, 0x3b9c, v8
	v_fmac_f16_e32 v8, 0xbb9c, v21
	v_fmamk_f16 v17, v31, 0xbb9c, v9
	v_fmac_f16_e32 v9, 0x3b9c, v31
	v_fmac_f16_e32 v12, 0x3b9c, v20
	;; [unrolled: 1-line block ×3, first 2 shown]
	v_add_f16_e32 v23, v23, v25
	v_add_f16_e32 v25, v32, v33
	;; [unrolled: 1-line block ×3, first 2 shown]
	v_fmac_f16_e32 v14, 0xb8b4, v21
	v_fmac_f16_e32 v16, 0x38b4, v31
	v_add_f16_e32 v27, v35, v36
	v_fmac_f16_e32 v13, 0xb8b4, v20
	v_fmac_f16_e32 v8, 0x38b4, v20
	;; [unrolled: 1-line block ×6, first 2 shown]
	v_add_f16_e32 v0, v28, v30
	v_add_f16_e32 v7, v7, v19
	v_fmac_f16_e32 v14, 0x34f2, v26
	v_fmac_f16_e32 v16, 0x34f2, v25
	;; [unrolled: 1-line block ×8, first 2 shown]
	v_pack_b32_f16 v19, v0, v7
	v_pack_b32_f16 v20, v14, v16
	;; [unrolled: 1-line block ×5, first 2 shown]
	ds_write2_b32 v22, v19, v20 offset1:56
	ds_write2_b32 v22, v21, v23 offset0:112 offset1:168
	ds_write_b32 v22, v24 offset:896
	s_waitcnt lgkmcnt(0)
	s_barrier
	buffer_gl0_inv
	s_and_saveexec_b32 s1, s0
	s_cbranch_execz .LBB0_20
; %bb.19:
	ds_read_b32 v0, v18
	ds_read_b32 v14, v18 offset:1120
	ds_read_b32 v13, v18 offset:2240
	;; [unrolled: 1-line block ×6, first 2 shown]
	s_waitcnt lgkmcnt(6)
	v_lshrrev_b32_e32 v7, 16, v0
	s_waitcnt lgkmcnt(5)
	v_lshrrev_b32_e32 v16, 16, v14
	;; [unrolled: 2-line block ×7, first 2 shown]
.LBB0_20:
	s_or_b32 exec_lo, exec_lo, s1
	v_mul_lo_u16 v18, 0x67, v3
	s_mul_i32 s3, s3, s24
	s_mul_hi_u32 s4, s2, s24
	s_mul_i32 s1, s2, s24
	s_add_i32 s4, s4, s3
	v_lshrrev_b16 v18, 12, v18
	s_add_u32 s2, s1, s46
	s_addc_u32 s3, s4, s33
	s_and_b32 s1, s0, s6
	v_mul_lo_u16 v18, v18, 40
	v_sub_nc_u16 v18, v3, v18
	v_and_b32_e32 v18, 0xff, v18
	v_mul_u32_u24_e32 v19, 6, v18
	v_mul_lo_u32 v20, v1, v18
	v_add_nc_u32_e32 v30, 0x78, v18
	v_add_nc_u32_e32 v31, 0xa0, v18
	;; [unrolled: 1-line block ×3, first 2 shown]
	v_lshlrev_b32_e32 v19, 2, v19
	v_mul_lo_u32 v30, v1, v30
	v_mul_lo_u32 v31, v1, v31
	v_lshlrev_b32_sdwa v21, v6, v20 dst_sel:DWORD dst_unused:UNUSED_PAD src0_sel:DWORD src1_sel:BYTE_0
	s_clause 0x1
	global_load_dwordx4 v[22:25], v19, s[26:27] offset:128
	global_load_dwordx2 v[26:27], v19, s[26:27] offset:144
	v_add_nc_u32_e32 v19, 40, v18
	v_lshlrev_b32_sdwa v28, v6, v20 dst_sel:DWORD dst_unused:UNUSED_PAD src0_sel:DWORD src1_sel:BYTE_1
	v_bfe_u32 v20, v20, 16, 8
	global_load_dword v29, v21, s[16:17]
	v_lshlrev_b32_sdwa v36, v6, v30 dst_sel:DWORD dst_unused:UNUSED_PAD src0_sel:DWORD src1_sel:BYTE_0
	v_mul_lo_u32 v19, v1, v19
	global_load_dword v28, v28, s[16:17] offset:1024
	v_add_nc_u32_e32 v21, 0x50, v18
	v_add_nc_u32_e32 v18, 0xf0, v18
	v_lshl_or_b32 v20, v20, 2, 0x800
	v_lshlrev_b32_sdwa v37, v6, v30 dst_sel:DWORD dst_unused:UNUSED_PAD src0_sel:DWORD src1_sel:BYTE_1
	v_lshlrev_b32_sdwa v38, v6, v31 dst_sel:DWORD dst_unused:UNUSED_PAD src0_sel:DWORD src1_sel:BYTE_0
	v_mul_lo_u32 v21, v1, v21
	v_lshlrev_b32_sdwa v33, v6, v19 dst_sel:DWORD dst_unused:UNUSED_PAD src0_sel:DWORD src1_sel:BYTE_0
	v_lshlrev_b32_sdwa v34, v6, v19 dst_sel:DWORD dst_unused:UNUSED_PAD src0_sel:DWORD src1_sel:BYTE_1
	v_lshlrev_b32_sdwa v39, v6, v31 dst_sel:DWORD dst_unused:UNUSED_PAD src0_sel:DWORD src1_sel:BYTE_1
	s_clause 0x2
	global_load_dword v33, v33, s[16:17]
	global_load_dword v34, v34, s[16:17] offset:1024
	global_load_dword v35, v20, s[16:17]
	v_mul_lo_u32 v20, v1, v32
	v_mul_lo_u32 v1, v1, v18
	v_lshlrev_b32_sdwa v18, v6, v21 dst_sel:DWORD dst_unused:UNUSED_PAD src0_sel:DWORD src1_sel:BYTE_0
	v_lshlrev_b32_sdwa v32, v6, v21 dst_sel:DWORD dst_unused:UNUSED_PAD src0_sel:DWORD src1_sel:BYTE_1
	v_lshlrev_b32_sdwa v40, v6, v20 dst_sel:DWORD dst_unused:UNUSED_PAD src0_sel:DWORD src1_sel:BYTE_0
	v_lshlrev_b32_sdwa v41, v6, v20 dst_sel:DWORD dst_unused:UNUSED_PAD src0_sel:DWORD src1_sel:BYTE_1
	;; [unrolled: 2-line block ×3, first 2 shown]
	s_clause 0x9
	global_load_dword v43, v18, s[16:17]
	global_load_dword v32, v32, s[16:17] offset:1024
	global_load_dword v36, v36, s[16:17]
	global_load_dword v37, v37, s[16:17] offset:1024
	;; [unrolled: 2-line block ×5, first 2 shown]
	v_bfe_u32 v6, v19, 16, 8
	v_bfe_u32 v18, v30, 16, 8
	;; [unrolled: 1-line block ×5, first 2 shown]
	v_lshl_or_b32 v6, v6, 2, 0x800
	v_lshl_or_b32 v18, v18, 2, 0x800
	;; [unrolled: 1-line block ×4, first 2 shown]
	s_clause 0x1
	global_load_dword v45, v6, s[16:17]
	global_load_dword v31, v18, s[16:17]
	v_bfe_u32 v6, v21, 16, 8
	v_add_nc_u32_e32 v21, 40, v3
	v_add_nc_u32_e32 v18, 0x78, v3
	v_lshl_or_b32 v6, v6, 2, 0x800
	global_load_dword v30, v6, s[16:17]
	v_lshl_or_b32 v6, v20, 2, 0x800
	s_clause 0x2
	global_load_dword v46, v19, s[16:17]
	global_load_dword v47, v6, s[16:17]
	;; [unrolled: 1-line block ×3, first 2 shown]
	v_add_nc_u32_e32 v20, 0x50, v3
	v_add_nc_u32_e32 v19, 0xa0, v3
	;; [unrolled: 1-line block ×4, first 2 shown]
	s_waitcnt vmcnt(22)
	v_mul_f16_sdwa v49, v16, v22 dst_sel:DWORD dst_unused:UNUSED_PAD src0_sel:DWORD src1_sel:WORD_1
	v_mul_f16_sdwa v50, v14, v22 dst_sel:DWORD dst_unused:UNUSED_PAD src0_sel:DWORD src1_sel:WORD_1
	;; [unrolled: 1-line block ×4, first 2 shown]
	s_waitcnt vmcnt(21)
	v_mul_f16_sdwa v57, v10, v26 dst_sel:DWORD dst_unused:UNUSED_PAD src0_sel:DWORD src1_sel:WORD_1
	v_mul_f16_sdwa v58, v5, v26 dst_sel:DWORD dst_unused:UNUSED_PAD src0_sel:DWORD src1_sel:WORD_1
	;; [unrolled: 1-line block ×8, first 2 shown]
	v_fmac_f16_e32 v49, v14, v22
	s_waitcnt vmcnt(20)
	v_lshrrev_b32_e32 v14, 16, v29
	v_fma_f16 v16, v16, v22, -v50
	s_waitcnt vmcnt(19)
	v_mul_f16_sdwa v22, v29, v28 dst_sel:DWORD dst_unused:UNUSED_PAD src0_sel:DWORD src1_sel:WORD_1
	v_fmac_f16_e32 v51, v13, v23
	v_fma_f16 v13, v17, v23, -v52
	v_fmac_f16_e32 v57, v5, v26
	v_fma_f16 v5, v10, v26, -v58
	;; [unrolled: 2-line block ×5, first 2 shown]
	v_mul_f16_sdwa v10, v14, v28 dst_sel:DWORD dst_unused:UNUSED_PAD src0_sel:DWORD src1_sel:WORD_1
	v_fmac_f16_e32 v22, v14, v28
	s_waitcnt vmcnt(18)
	v_lshrrev_b32_e32 v11, 16, v33
	s_waitcnt vmcnt(17)
	v_mul_f16_sdwa v12, v33, v34 dst_sel:DWORD dst_unused:UNUSED_PAD src0_sel:DWORD src1_sel:WORD_1
	v_add_f16_e32 v14, v49, v59
	v_add_f16_e32 v15, v16, v2
	v_sub_f16_e32 v2, v16, v2
	v_add_f16_e32 v16, v51, v57
	v_add_f16_e32 v23, v13, v5
	v_sub_f16_e32 v17, v49, v59
	v_sub_f16_e32 v24, v51, v57
	;; [unrolled: 1-line block ×3, first 2 shown]
	v_add_f16_e32 v13, v53, v55
	v_add_f16_e32 v25, v8, v9
	v_sub_f16_e32 v26, v55, v53
	v_sub_f16_e32 v8, v9, v8
	v_fma_f16 v9, v29, v28, -v10
	s_waitcnt vmcnt(16)
	v_mul_f16_sdwa v10, v22, v35 dst_sel:DWORD dst_unused:UNUSED_PAD src0_sel:DWORD src1_sel:WORD_1
	v_mul_f16_sdwa v27, v11, v34 dst_sel:DWORD dst_unused:UNUSED_PAD src0_sel:DWORD src1_sel:WORD_1
	v_fmac_f16_e32 v12, v11, v34
	s_waitcnt vmcnt(15)
	v_lshrrev_b32_e32 v11, 16, v43
	s_waitcnt vmcnt(14)
	v_mul_f16_sdwa v28, v43, v32 dst_sel:DWORD dst_unused:UNUSED_PAD src0_sel:DWORD src1_sel:WORD_1
	v_add_f16_e32 v56, v16, v14
	v_add_f16_e32 v57, v23, v15
	s_waitcnt vmcnt(13)
	v_lshrrev_b32_e32 v29, 16, v36
	s_waitcnt vmcnt(12)
	v_mul_f16_sdwa v49, v36, v37 dst_sel:DWORD dst_unused:UNUSED_PAD src0_sel:DWORD src1_sel:WORD_1
	s_waitcnt vmcnt(11)
	v_lshrrev_b32_e32 v50, 16, v38
	s_waitcnt vmcnt(10)
	v_mul_f16_sdwa v51, v38, v39 dst_sel:DWORD dst_unused:UNUSED_PAD src0_sel:DWORD src1_sel:WORD_1
	;; [unrolled: 4-line block ×4, first 2 shown]
	v_sub_f16_e32 v58, v16, v14
	v_sub_f16_e32 v59, v23, v15
	;; [unrolled: 1-line block ×6, first 2 shown]
	v_add_f16_e32 v60, v26, v24
	v_fma_f16 v27, v33, v34, -v27
	v_add_f16_e32 v33, v8, v5
	v_sub_f16_e32 v34, v26, v24
	v_add_f16_e32 v13, v13, v56
	v_sub_f16_e32 v56, v8, v5
	v_sub_f16_e32 v24, v24, v17
	;; [unrolled: 1-line block ×3, first 2 shown]
	v_fma_f16 v10, v35, v9, -v10
	v_mul_f16_sdwa v9, v9, v35 dst_sel:DWORD dst_unused:UNUSED_PAD src0_sel:DWORD src1_sel:WORD_1
	v_add_f16_e32 v25, v25, v57
	s_waitcnt vmcnt(5)
	v_mul_f16_sdwa v57, v12, v45 dst_sel:DWORD dst_unused:UNUSED_PAD src0_sel:DWORD src1_sel:WORD_1
	v_fmac_f16_e32 v28, v11, v32
	v_mul_f16_sdwa v11, v11, v32 dst_sel:DWORD dst_unused:UNUSED_PAD src0_sel:DWORD src1_sel:WORD_1
	v_sub_f16_e32 v26, v17, v26
	v_sub_f16_e32 v8, v2, v8
	v_fmac_f16_e32 v49, v29, v37
	v_mul_f16_sdwa v29, v29, v37 dst_sel:DWORD dst_unused:UNUSED_PAD src0_sel:DWORD src1_sel:WORD_1
	v_fmac_f16_e32 v51, v50, v39
	v_mul_f16_sdwa v50, v50, v39 dst_sel:DWORD dst_unused:UNUSED_PAD src0_sel:DWORD src1_sel:WORD_1
	;; [unrolled: 2-line block ×4, first 2 shown]
	v_add_f16_e32 v17, v60, v17
	v_add_f16_e32 v2, v33, v2
	v_mul_f16_e32 v14, 0x3a52, v14
	v_mul_f16_e32 v15, 0x3a52, v15
	;; [unrolled: 1-line block ×6, first 2 shown]
	v_fmac_f16_e32 v9, v35, v22
	v_mul_f16_e32 v22, 0xbb00, v24
	v_mul_f16_e32 v35, 0xbb00, v5
	v_fma_f16 v57, v45, v27, -v57
	v_mul_f16_sdwa v27, v27, v45 dst_sel:DWORD dst_unused:UNUSED_PAD src0_sel:DWORD src1_sel:WORD_1
	v_fma_f16 v11, v43, v32, -v11
	s_waitcnt vmcnt(3)
	v_mul_f16_sdwa v32, v28, v30 dst_sel:DWORD dst_unused:UNUSED_PAD src0_sel:DWORD src1_sel:WORD_1
	v_add_f16_e32 v0, v0, v13
	v_add_f16_e32 v7, v7, v25
	v_fma_f16 v29, v36, v37, -v29
	v_mul_f16_sdwa v36, v49, v31 dst_sel:DWORD dst_unused:UNUSED_PAD src0_sel:DWORD src1_sel:WORD_1
	v_fma_f16 v37, v38, v39, -v50
	s_waitcnt vmcnt(2)
	v_mul_f16_sdwa v38, v51, v46 dst_sel:DWORD dst_unused:UNUSED_PAD src0_sel:DWORD src1_sel:WORD_1
	v_fma_f16 v39, v40, v41, -v52
	v_fma_f16 v41, v42, v44, -v54
	v_fmamk_f16 v16, v16, 0x2b26, v14
	v_fmamk_f16 v23, v23, 0x2b26, v15
	v_fma_f16 v33, v58, 0x39e0, -v33
	v_fma_f16 v43, v59, 0x39e0, -v60
	;; [unrolled: 1-line block ×4, first 2 shown]
	v_fmamk_f16 v44, v26, 0xb574, v34
	v_fmamk_f16 v50, v8, 0xb574, v56
	v_fma_f16 v24, v24, 0xbb00, -v34
	v_fma_f16 v5, v5, 0xbb00, -v56
	;; [unrolled: 1-line block ×4, first 2 shown]
	v_fmac_f16_e32 v27, v45, v12
	v_fma_f16 v12, v30, v11, -v32
	v_mul_f16_sdwa v11, v11, v30 dst_sel:DWORD dst_unused:UNUSED_PAD src0_sel:DWORD src1_sel:WORD_1
	v_fmamk_f16 v13, v13, 0xbcab, v0
	v_fmamk_f16 v25, v25, 0xbcab, v7
	v_fma_f16 v26, v31, v29, -v36
	v_mul_f16_sdwa v29, v29, v31 dst_sel:DWORD dst_unused:UNUSED_PAD src0_sel:DWORD src1_sel:WORD_1
	v_fma_f16 v32, v46, v37, -v38
	v_mul_f16_sdwa v34, v37, v46 dst_sel:DWORD dst_unused:UNUSED_PAD src0_sel:DWORD src1_sel:WORD_1
	s_waitcnt vmcnt(1)
	v_mul_f16_sdwa v36, v39, v47 dst_sel:DWORD dst_unused:UNUSED_PAD src0_sel:DWORD src1_sel:WORD_1
	s_waitcnt vmcnt(0)
	v_mul_f16_sdwa v38, v41, v48 dst_sel:DWORD dst_unused:UNUSED_PAD src0_sel:DWORD src1_sel:WORD_1
	v_fmac_f16_e32 v44, 0xb70e, v17
	v_fmac_f16_e32 v50, 0xb70e, v2
	;; [unrolled: 1-line block ×6, first 2 shown]
	v_mul_f16_e32 v2, v7, v9
	v_mul_f16_e32 v9, v0, v9
	v_fmac_f16_e32 v11, v30, v28
	v_add_f16_e32 v16, v16, v13
	v_add_f16_e32 v17, v23, v25
	;; [unrolled: 1-line block ×6, first 2 shown]
	v_mul_f16_sdwa v40, v53, v47 dst_sel:DWORD dst_unused:UNUSED_PAD src0_sel:DWORD src1_sel:WORD_1
	v_mul_f16_sdwa v42, v55, v48 dst_sel:DWORD dst_unused:UNUSED_PAD src0_sel:DWORD src1_sel:WORD_1
	v_fmac_f16_e32 v29, v31, v49
	v_fmac_f16_e32 v34, v46, v51
	;; [unrolled: 1-line block ×5, first 2 shown]
	v_fma_f16 v0, v7, v10, -v9
	v_add_f16_e32 v7, v50, v16
	v_sub_f16_e32 v10, v17, v44
	v_add_f16_e32 v15, v8, v13
	v_sub_f16_e32 v25, v14, v22
	v_sub_f16_e32 v30, v23, v5
	v_add_f16_e32 v31, v24, v28
	v_add_f16_e32 v5, v5, v23
	v_sub_f16_e32 v23, v28, v24
	v_sub_f16_e32 v8, v13, v8
	v_add_f16_e32 v13, v22, v14
	v_sub_f16_e32 v14, v16, v50
	v_add_f16_e32 v16, v44, v17
	v_fma_f16 v35, v47, v39, -v40
	v_fma_f16 v37, v48, v41, -v42
	v_perm_b32 v9, v0, v2, 0x5040100
	v_mul_f16_e32 v0, v10, v27
	v_mul_f16_e32 v2, v7, v27
	;; [unrolled: 1-line block ×12, first 2 shown]
	v_fmac_f16_e32 v0, v7, v57
	v_fma_f16 v2, v10, v57, -v2
	v_fmac_f16_e32 v17, v15, v12
	v_fma_f16 v7, v25, v12, -v11
	;; [unrolled: 2-line block ×6, first 2 shown]
	v_perm_b32 v10, v2, v0, 0x5040100
	v_perm_b32 v8, v7, v17, 0x5040100
	;; [unrolled: 1-line block ×6, first 2 shown]
	s_and_saveexec_b32 s4, s1
	s_cbranch_execz .LBB0_22
; %bb.21:
	v_mad_u64_u32 v[11:12], null, s10, v4, 0
	v_mad_u64_u32 v[13:14], null, s8, v3, 0
	;; [unrolled: 1-line block ×3, first 2 shown]
	s_lshl_b64 s[12:13], s[2:3], 2
	s_add_u32 s1, s14, s12
	s_addc_u32 s5, s15, s13
	v_mad_u64_u32 v[22:23], null, s11, v4, v[12:13]
	v_mov_b32_e32 v12, v16
	v_mad_u64_u32 v[16:17], null, s9, v3, v[14:15]
	v_mad_u64_u32 v[23:24], null, s8, v20, 0
	;; [unrolled: 1-line block ×3, first 2 shown]
	v_mov_b32_e32 v12, v22
	v_mov_b32_e32 v14, v16
	;; [unrolled: 1-line block ×3, first 2 shown]
	v_lshlrev_b64 v[11:12], 2, v[11:12]
	v_mov_b32_e32 v16, v25
	v_lshlrev_b64 v[13:14], 2, v[13:14]
	v_mad_u64_u32 v[25:26], null, s8, v6, 0
	v_add_co_u32 v29, s1, s1, v11
	v_add_co_ci_u32_e64 v30, s1, s5, v12, s1
	v_lshlrev_b64 v[11:12], 2, v[15:16]
	v_add_co_u32 v13, s1, v29, v13
	v_add_co_ci_u32_e64 v14, s1, v30, v14, s1
	v_mad_u64_u32 v[15:16], null, s9, v20, v[17:18]
	v_mad_u64_u32 v[16:17], null, s8, v18, 0
	global_store_dword v[13:14], v9, off
	v_mad_u64_u32 v[13:14], null, s8, v19, 0
	v_add_co_u32 v11, s1, v29, v11
	v_add_co_ci_u32_e64 v12, s1, v30, v12, s1
	v_mov_b32_e32 v24, v15
	global_store_dword v[11:12], v10, off
	v_mov_b32_e32 v11, v17
	v_mov_b32_e32 v12, v14
	v_lshlrev_b64 v[14:15], 2, v[23:24]
	v_mad_u64_u32 v[22:23], null, s9, v18, v[11:12]
	v_mad_u64_u32 v[11:12], null, s9, v19, v[12:13]
	;; [unrolled: 1-line block ×3, first 2 shown]
	v_mov_b32_e32 v12, v26
	v_add_co_u32 v26, s1, v29, v14
	v_add_co_ci_u32_e64 v27, s1, v30, v15, s1
	v_mov_b32_e32 v14, v11
	v_mad_u64_u32 v[11:12], null, s9, v6, v[12:13]
	v_mov_b32_e32 v12, v24
	v_mov_b32_e32 v17, v22
	v_lshlrev_b64 v[13:14], 2, v[13:14]
	global_store_dword v[26:27], v8, off
	v_lshlrev_b64 v[15:16], 2, v[16:17]
	v_mov_b32_e32 v26, v11
	v_mad_u64_u32 v[27:28], null, s9, v1, v[12:13]
	v_add_co_u32 v11, s1, v29, v15
	v_add_co_ci_u32_e64 v12, s1, v30, v16, s1
	v_mov_b32_e32 v24, v27
	v_lshlrev_b64 v[15:16], 2, v[25:26]
	v_add_co_u32 v13, s1, v29, v13
	v_add_co_ci_u32_e64 v14, s1, v30, v14, s1
	v_lshlrev_b64 v[22:23], 2, v[23:24]
	v_add_co_u32 v15, s1, v29, v15
	v_add_co_ci_u32_e64 v16, s1, v30, v16, s1
	v_add_co_u32 v22, s1, v29, v22
	v_add_co_ci_u32_e64 v23, s1, v30, v23, s1
	global_store_dword v[11:12], v2, off
	global_store_dword v[13:14], v5, off
	;; [unrolled: 1-line block ×4, first 2 shown]
.LBB0_22:
	s_or_b32 exec_lo, exec_lo, s4
	s_and_b32 s0, s0, vcc_lo
	s_and_b32 s0, s7, s0
	s_and_saveexec_b32 s1, s0
	s_cbranch_execz .LBB0_24
; %bb.23:
	v_mad_u64_u32 v[11:12], null, s10, v4, 0
	v_mad_u64_u32 v[13:14], null, s8, v3, 0
	;; [unrolled: 1-line block ×3, first 2 shown]
	s_lshl_b64 s[0:1], s[2:3], 2
	s_add_u32 s0, s14, s0
	s_addc_u32 s1, s15, s1
	v_mad_u64_u32 v[22:23], null, s11, v4, v[12:13]
	v_mov_b32_e32 v4, v16
	v_mad_u64_u32 v[16:17], null, s9, v3, v[14:15]
	v_mad_u64_u32 v[23:24], null, s8, v20, 0
	;; [unrolled: 1-line block ×3, first 2 shown]
	v_mov_b32_e32 v12, v22
	v_mov_b32_e32 v14, v16
	;; [unrolled: 1-line block ×3, first 2 shown]
	v_lshlrev_b64 v[11:12], 2, v[11:12]
	v_mov_b32_e32 v16, v3
	v_lshlrev_b64 v[13:14], 2, v[13:14]
	v_mad_u64_u32 v[3:4], null, s9, v20, v[4:5]
	v_add_co_u32 v21, vcc_lo, s0, v11
	v_add_co_ci_u32_e32 v22, vcc_lo, s1, v12, vcc_lo
	v_lshlrev_b64 v[11:12], 2, v[15:16]
	v_add_co_u32 v13, vcc_lo, v21, v13
	v_add_co_ci_u32_e32 v14, vcc_lo, v22, v14, vcc_lo
	v_mad_u64_u32 v[15:16], null, s8, v18, 0
	v_add_co_u32 v11, vcc_lo, v21, v11
	global_store_dword v[13:14], v9, off
	v_mad_u64_u32 v[13:14], null, s8, v19, 0
	v_add_co_ci_u32_e32 v12, vcc_lo, v22, v12, vcc_lo
	v_mov_b32_e32 v24, v3
	v_mov_b32_e32 v3, v16
	global_store_dword v[11:12], v10, off
	v_mad_u64_u32 v[9:10], null, s8, v6, 0
	v_mov_b32_e32 v4, v14
	v_lshlrev_b64 v[11:12], 2, v[23:24]
	v_mad_u64_u32 v[16:17], null, s9, v18, v[3:4]
	v_mad_u64_u32 v[3:4], null, s9, v19, v[4:5]
	;; [unrolled: 1-line block ×3, first 2 shown]
	v_mov_b32_e32 v4, v10
	v_add_co_u32 v10, vcc_lo, v21, v11
	v_add_co_ci_u32_e32 v11, vcc_lo, v22, v12, vcc_lo
	v_mov_b32_e32 v14, v3
	v_mad_u64_u32 v[3:4], null, s9, v6, v[4:5]
	v_mov_b32_e32 v4, v18
	global_store_dword v[10:11], v8, off
	v_lshlrev_b64 v[11:12], 2, v[15:16]
	v_lshlrev_b64 v[13:14], 2, v[13:14]
	v_mad_u64_u32 v[15:16], null, s9, v1, v[4:5]
	v_mov_b32_e32 v10, v3
	v_add_co_u32 v3, vcc_lo, v21, v11
	v_add_co_ci_u32_e32 v4, vcc_lo, v22, v12, vcc_lo
	v_lshlrev_b64 v[8:9], 2, v[9:10]
	v_mov_b32_e32 v18, v15
	v_add_co_u32 v10, vcc_lo, v21, v13
	v_add_co_ci_u32_e32 v11, vcc_lo, v22, v14, vcc_lo
	v_lshlrev_b64 v[12:13], 2, v[17:18]
	v_add_co_u32 v8, vcc_lo, v21, v8
	v_add_co_ci_u32_e32 v9, vcc_lo, v22, v9, vcc_lo
	v_add_co_u32 v12, vcc_lo, v21, v12
	v_add_co_ci_u32_e32 v13, vcc_lo, v22, v13, vcc_lo
	global_store_dword v[3:4], v2, off
	global_store_dword v[10:11], v5, off
	;; [unrolled: 1-line block ×4, first 2 shown]
.LBB0_24:
	s_endpgm
	.section	.rodata,"a",@progbits
	.p2align	6, 0x0
	.amdhsa_kernel fft_rtc_back_len280_factors_8_5_7_wgs_392_tpt_56_half_op_CI_CI_sbcc_twdbase8_3step_dirReg
		.amdhsa_group_segment_fixed_size 0
		.amdhsa_private_segment_fixed_size 0
		.amdhsa_kernarg_size 112
		.amdhsa_user_sgpr_count 6
		.amdhsa_user_sgpr_private_segment_buffer 1
		.amdhsa_user_sgpr_dispatch_ptr 0
		.amdhsa_user_sgpr_queue_ptr 0
		.amdhsa_user_sgpr_kernarg_segment_ptr 1
		.amdhsa_user_sgpr_dispatch_id 0
		.amdhsa_user_sgpr_flat_scratch_init 0
		.amdhsa_user_sgpr_private_segment_size 0
		.amdhsa_wavefront_size32 1
		.amdhsa_uses_dynamic_stack 0
		.amdhsa_system_sgpr_private_segment_wavefront_offset 0
		.amdhsa_system_sgpr_workgroup_id_x 1
		.amdhsa_system_sgpr_workgroup_id_y 0
		.amdhsa_system_sgpr_workgroup_id_z 0
		.amdhsa_system_sgpr_workgroup_info 0
		.amdhsa_system_vgpr_workitem_id 0
		.amdhsa_next_free_vgpr 61
		.amdhsa_next_free_sgpr 59
		.amdhsa_reserve_vcc 1
		.amdhsa_reserve_flat_scratch 0
		.amdhsa_float_round_mode_32 0
		.amdhsa_float_round_mode_16_64 0
		.amdhsa_float_denorm_mode_32 3
		.amdhsa_float_denorm_mode_16_64 3
		.amdhsa_dx10_clamp 1
		.amdhsa_ieee_mode 1
		.amdhsa_fp16_overflow 0
		.amdhsa_workgroup_processor_mode 1
		.amdhsa_memory_ordered 1
		.amdhsa_forward_progress 0
		.amdhsa_shared_vgpr_count 0
		.amdhsa_exception_fp_ieee_invalid_op 0
		.amdhsa_exception_fp_denorm_src 0
		.amdhsa_exception_fp_ieee_div_zero 0
		.amdhsa_exception_fp_ieee_overflow 0
		.amdhsa_exception_fp_ieee_underflow 0
		.amdhsa_exception_fp_ieee_inexact 0
		.amdhsa_exception_int_div_zero 0
	.end_amdhsa_kernel
	.text
.Lfunc_end0:
	.size	fft_rtc_back_len280_factors_8_5_7_wgs_392_tpt_56_half_op_CI_CI_sbcc_twdbase8_3step_dirReg, .Lfunc_end0-fft_rtc_back_len280_factors_8_5_7_wgs_392_tpt_56_half_op_CI_CI_sbcc_twdbase8_3step_dirReg
                                        ; -- End function
	.section	.AMDGPU.csdata,"",@progbits
; Kernel info:
; codeLenInByte = 7004
; NumSgprs: 61
; NumVgprs: 61
; ScratchSize: 0
; MemoryBound: 0
; FloatMode: 240
; IeeeMode: 1
; LDSByteSize: 0 bytes/workgroup (compile time only)
; SGPRBlocks: 7
; VGPRBlocks: 7
; NumSGPRsForWavesPerEU: 61
; NumVGPRsForWavesPerEU: 61
; Occupancy: 13
; WaveLimiterHint : 1
; COMPUTE_PGM_RSRC2:SCRATCH_EN: 0
; COMPUTE_PGM_RSRC2:USER_SGPR: 6
; COMPUTE_PGM_RSRC2:TRAP_HANDLER: 0
; COMPUTE_PGM_RSRC2:TGID_X_EN: 1
; COMPUTE_PGM_RSRC2:TGID_Y_EN: 0
; COMPUTE_PGM_RSRC2:TGID_Z_EN: 0
; COMPUTE_PGM_RSRC2:TIDIG_COMP_CNT: 0
	.text
	.p2alignl 6, 3214868480
	.fill 48, 4, 3214868480
	.type	__hip_cuid_366dd09adf70aca7,@object ; @__hip_cuid_366dd09adf70aca7
	.section	.bss,"aw",@nobits
	.globl	__hip_cuid_366dd09adf70aca7
__hip_cuid_366dd09adf70aca7:
	.byte	0                               ; 0x0
	.size	__hip_cuid_366dd09adf70aca7, 1

	.ident	"AMD clang version 19.0.0git (https://github.com/RadeonOpenCompute/llvm-project roc-6.4.0 25133 c7fe45cf4b819c5991fe208aaa96edf142730f1d)"
	.section	".note.GNU-stack","",@progbits
	.addrsig
	.addrsig_sym __hip_cuid_366dd09adf70aca7
	.amdgpu_metadata
---
amdhsa.kernels:
  - .args:
      - .actual_access:  read_only
        .address_space:  global
        .offset:         0
        .size:           8
        .value_kind:     global_buffer
      - .address_space:  global
        .offset:         8
        .size:           8
        .value_kind:     global_buffer
      - .offset:         16
        .size:           8
        .value_kind:     by_value
      - .actual_access:  read_only
        .address_space:  global
        .offset:         24
        .size:           8
        .value_kind:     global_buffer
      - .actual_access:  read_only
        .address_space:  global
        .offset:         32
        .size:           8
        .value_kind:     global_buffer
      - .actual_access:  read_only
        .address_space:  global
        .offset:         40
        .size:           8
        .value_kind:     global_buffer
      - .offset:         48
        .size:           8
        .value_kind:     by_value
      - .actual_access:  read_only
        .address_space:  global
        .offset:         56
        .size:           8
        .value_kind:     global_buffer
      - .actual_access:  read_only
        .address_space:  global
        .offset:         64
        .size:           8
        .value_kind:     global_buffer
      - .offset:         72
        .size:           4
        .value_kind:     by_value
      - .actual_access:  read_only
        .address_space:  global
        .offset:         80
        .size:           8
        .value_kind:     global_buffer
      - .actual_access:  read_only
        .address_space:  global
        .offset:         88
        .size:           8
        .value_kind:     global_buffer
      - .actual_access:  read_only
        .address_space:  global
        .offset:         96
        .size:           8
        .value_kind:     global_buffer
      - .actual_access:  write_only
        .address_space:  global
        .offset:         104
        .size:           8
        .value_kind:     global_buffer
    .group_segment_fixed_size: 0
    .kernarg_segment_align: 8
    .kernarg_segment_size: 112
    .language:       OpenCL C
    .language_version:
      - 2
      - 0
    .max_flat_workgroup_size: 392
    .name:           fft_rtc_back_len280_factors_8_5_7_wgs_392_tpt_56_half_op_CI_CI_sbcc_twdbase8_3step_dirReg
    .private_segment_fixed_size: 0
    .sgpr_count:     61
    .sgpr_spill_count: 0
    .symbol:         fft_rtc_back_len280_factors_8_5_7_wgs_392_tpt_56_half_op_CI_CI_sbcc_twdbase8_3step_dirReg.kd
    .uniform_work_group_size: 1
    .uses_dynamic_stack: false
    .vgpr_count:     61
    .vgpr_spill_count: 0
    .wavefront_size: 32
    .workgroup_processor_mode: 1
amdhsa.target:   amdgcn-amd-amdhsa--gfx1030
amdhsa.version:
  - 1
  - 2
...

	.end_amdgpu_metadata
